;; amdgpu-corpus repo=ROCm/rocm-examples kind=compiled arch=gfx1100 opt=O3
	.text
	.amdgcn_target "amdgcn-amd-amdhsa--gfx1100"
	.amdhsa_code_object_version 6
	.protected	_Z15sgemm_rocwmma_djjjPKfS0_S0_Pfjjjjff ; -- Begin function _Z15sgemm_rocwmma_djjjPKfS0_S0_Pfjjjjff
	.globl	_Z15sgemm_rocwmma_djjjPKfS0_S0_Pfjjjjff
	.p2align	8
	.type	_Z15sgemm_rocwmma_djjjPKfS0_S0_Pfjjjjff,@function
_Z15sgemm_rocwmma_djjjPKfS0_S0_Pfjjjjff: ; @_Z15sgemm_rocwmma_djjjPKfS0_S0_Pfjjjjff
; %bb.0:
	v_and_b32_e32 v5, 0x3ff, v0
	s_load_b128 s[16:19], s[0:1], 0x0
	v_bfe_u32 v1, v0, 10, 10
	s_lshl_b32 s20, s14, 8
	s_lshl_b32 s22, s15, 7
	v_lshlrev_b32_e32 v6, 1, v5
	s_delay_alu instid0(VALU_DEP_2) | instskip(NEXT) | instid1(VALU_DEP_2)
	v_lshl_add_u32 v0, v1, 6, s22
	v_and_b32_e32 v2, 0x1c0, v6
	s_delay_alu instid0(VALU_DEP_2) | instskip(NEXT) | instid1(VALU_DEP_2)
	v_add_nc_u32_e32 v3, 64, v0
	v_add_nc_u32_e32 v18, s20, v2
	s_delay_alu instid0(VALU_DEP_1) | instskip(SKIP_1) | instid1(VALU_DEP_3)
	v_add_nc_u32_e32 v2, 64, v18
	s_waitcnt lgkmcnt(0)
	v_cmp_ge_u32_e64 s2, s17, v3
	s_delay_alu instid0(VALU_DEP_2) | instskip(NEXT) | instid1(VALU_DEP_2)
	v_cmp_ge_u32_e32 vcc_lo, s16, v2
	s_and_b32 s2, vcc_lo, s2
	s_delay_alu instid0(SALU_CYCLE_1)
	s_and_saveexec_b32 s3, s2
	s_cbranch_execz .LBB0_5
; %bb.1:
	v_lshrrev_b32_e32 v2, 4, v5
	s_clause 0x1
	s_load_b128 s[12:15], s[0:1], 0x30
	s_load_b256 s[4:11], s[0:1], 0x10
	v_lshlrev_b32_e32 v3, 4, v5
	v_bfe_u32 v4, v5, 4, 1
	s_mov_b32 s21, 0
	v_and_b32_e32 v2, 62, v2
	s_lshl_b64 s[2:3], s[20:21], 2
	v_and_b32_e32 v7, 0xf0, v3
	s_mov_b32 s23, s21
	s_load_b64 s[0:1], s[0:1], 0x40
	v_add_nc_u32_e32 v1, v2, v1
	v_lshlrev_b32_e32 v2, 3, v5
	s_delay_alu instid0(VALU_DEP_2) | instskip(NEXT) | instid1(VALU_DEP_2)
	v_lshl_or_b32 v17, v1, 1, v4
	v_and_b32_e32 v8, 0x78, v2
	s_delay_alu instid0(VALU_DEP_2) | instskip(SKIP_1) | instid1(VALU_DEP_2)
	v_mul_u32_u24_e32 v35, 0x180, v17
	s_waitcnt lgkmcnt(0)
	v_mad_u64_u32 v[96:97], null, v17, s12, v[7:8]
	v_mov_b32_e32 v97, 0
	v_mad_u64_u32 v[3:4], null, v17, s13, v[8:9]
	s_add_u32 s16, s4, s2
	s_addc_u32 s17, s5, s3
	s_delay_alu instid0(VALU_DEP_2) | instskip(NEXT) | instid1(VALU_DEP_4)
	v_mov_b32_e32 v4, v97
	v_lshlrev_b64 v[1:2], 2, v[96:97]
	s_lshl_b64 s[2:3], s[22:23], 2
	v_mad_u32_u24 v7, 0x180, v17, v7
	s_add_u32 s2, s6, s2
	v_lshlrev_b64 v[3:4], 2, v[3:4]
	s_addc_u32 s3, s7, s3
	v_add_co_u32 v23, vcc_lo, s16, v1
	v_add_co_ci_u32_e32 v24, vcc_lo, s17, v2, vcc_lo
	s_delay_alu instid0(VALU_DEP_3) | instskip(NEXT) | instid1(VALU_DEP_4)
	v_add_co_u32 v31, vcc_lo, s2, v3
	v_add_co_ci_u32_e32 v32, vcc_lo, s3, v4, vcc_lo
	s_clause 0x3
	global_load_b128 v[9:12], v[23:24], off offset:48
	global_load_b128 v[13:16], v[23:24], off offset:32
	;; [unrolled: 1-line block ×3, first 2 shown]
	global_load_b128 v[23:26], v[23:24], off
	s_clause 0x1
	global_load_b128 v[27:30], v[31:32], off offset:16
	global_load_b128 v[31:34], v[31:32], off
	v_or_b32_e32 v8, v35, v8
	v_lshl_add_u32 v17, v7, 2, 0
	s_cmp_lt_u32 s18, 17
	s_delay_alu instid0(VALU_DEP_2)
	v_lshl_add_u32 v35, v8, 2, 0
	s_waitcnt vmcnt(5)
	ds_store_b128 v17, v[9:12] offset:48
	s_waitcnt vmcnt(4)
	ds_store_b128 v17, v[13:16] offset:32
	;; [unrolled: 2-line block ×3, first 2 shown]
	s_waitcnt vmcnt(2)
	ds_store_b128 v17, v[23:26]
	s_waitcnt vmcnt(1)
	ds_store_b128 v35, v[27:30] offset:1040
	s_waitcnt vmcnt(0)
	ds_store_b128 v35, v[31:34] offset:1024
	s_waitcnt lgkmcnt(0)
	s_barrier
	buffer_gl0_inv
	s_cbranch_scc1 .LBB0_4
; %bb.2:
	v_add_co_u32 v1, vcc_lo, s4, v1
	v_add_co_ci_u32_e32 v2, vcc_lo, s5, v2, vcc_lo
	v_add_co_u32 v3, vcc_lo, s6, v3
	v_add_co_ci_u32_e32 v4, vcc_lo, s7, v4, vcc_lo
	s_lshl_b32 s12, s12, 4
	s_lshl_b32 s13, s13, 4
	s_add_i32 s20, s20, s12
	s_add_i32 s5, 0, 0x6000
	s_add_i32 s2, s22, s13
	s_mov_b32 s4, 16
	s_mov_b32 s6, s21
	s_set_inst_prefetch_distance 0x1
	.p2align	6
.LBB0_3:                                ; =>This Inner Loop Header: Depth=1
	s_lshl_b64 s[16:17], s[20:21], 2
	s_mov_b32 s3, s21
	v_add_co_u32 v23, vcc_lo, v1, s16
	v_add_co_ci_u32_e32 v24, vcc_lo, s17, v2, vcc_lo
	s_lshl_b64 s[16:17], s[2:3], 2
	v_lshl_add_u32 v17, v7, 2, s5
	v_add_co_u32 v31, vcc_lo, v3, s16
	v_add_co_ci_u32_e32 v32, vcc_lo, s17, v4, vcc_lo
	s_clause 0x3
	global_load_b128 v[9:12], v[23:24], off offset:48
	global_load_b128 v[13:16], v[23:24], off offset:32
	;; [unrolled: 1-line block ×3, first 2 shown]
	global_load_b128 v[23:26], v[23:24], off
	s_clause 0x1
	global_load_b128 v[27:30], v[31:32], off offset:16
	global_load_b128 v[31:34], v[31:32], off
	s_mov_b32 s3, s6
	s_add_i32 s4, s4, 16
	s_add_i32 s20, s20, s12
	;; [unrolled: 1-line block ×3, first 2 shown]
	v_lshl_add_u32 v35, v8, 2, s5
	s_mov_b32 s6, s5
	s_mov_b32 s5, s3
	s_cmp_ge_u32 s4, s18
	s_waitcnt vmcnt(5)
	ds_store_b128 v17, v[9:12] offset:48
	s_waitcnt vmcnt(4)
	ds_store_b128 v17, v[13:16] offset:32
	;; [unrolled: 2-line block ×3, first 2 shown]
	s_waitcnt vmcnt(2)
	ds_store_b128 v17, v[23:26]
	s_waitcnt vmcnt(1)
	ds_store_b128 v35, v[27:30] offset:1040
	s_waitcnt vmcnt(0)
	ds_store_b128 v35, v[31:34] offset:1024
	s_waitcnt lgkmcnt(0)
	s_barrier
	buffer_gl0_inv
	s_cbranch_scc0 .LBB0_3
.LBB0_4:
	s_set_inst_prefetch_distance 0x2
	v_lshlrev_b32_e32 v1, 2, v5
	v_and_b32_e32 v19, 32, v6
	s_delay_alu instid0(VALU_DEP_2) | instskip(SKIP_2) | instid1(VALU_DEP_3)
	v_and_b32_e32 v3, 60, v1
	v_mad_u64_u32 v[1:2], null, v18, s14, v[0:1]
	v_mov_b32_e32 v2, v97
	v_mad_u64_u32 v[4:5], null, v19, s14, v[3:4]
	v_mov_b32_e32 v5, v97
	s_delay_alu instid0(VALU_DEP_3) | instskip(NEXT) | instid1(VALU_DEP_3)
	v_lshlrev_b64 v[1:2], 2, v[1:2]
	v_add_nc_u32_e32 v96, s14, v4
	s_delay_alu instid0(VALU_DEP_3) | instskip(NEXT) | instid1(VALU_DEP_3)
	v_lshlrev_b64 v[4:5], 2, v[4:5]
	v_add_co_u32 v16, vcc_lo, s8, v1
	s_delay_alu instid0(VALU_DEP_4) | instskip(NEXT) | instid1(VALU_DEP_4)
	v_add_co_ci_u32_e32 v17, vcc_lo, s9, v2, vcc_lo
	v_lshlrev_b64 v[14:15], 2, v[96:97]
	s_delay_alu instid0(VALU_DEP_3) | instskip(NEXT) | instid1(VALU_DEP_3)
	v_add_co_u32 v4, vcc_lo, v16, v4
	v_add_co_ci_u32_e32 v5, vcc_lo, v17, v5, vcc_lo
	v_add_nc_u32_e32 v96, s14, v96
	global_load_b128 v[4:7], v[4:5], off
	v_lshlrev_b64 v[1:2], 2, v[96:97]
	v_add_nc_u32_e32 v96, s14, v96
	s_delay_alu instid0(VALU_DEP_1) | instskip(SKIP_1) | instid1(VALU_DEP_1)
	v_lshlrev_b64 v[12:13], 2, v[96:97]
	v_add_nc_u32_e32 v96, s14, v96
	v_lshlrev_b64 v[8:9], 2, v[96:97]
	v_add_nc_u32_e32 v96, s14, v96
	s_delay_alu instid0(VALU_DEP_2) | instskip(NEXT) | instid1(VALU_DEP_3)
	v_add_co_u32 v8, vcc_lo, v16, v8
	v_add_co_ci_u32_e32 v9, vcc_lo, v17, v9, vcc_lo
	v_add_co_u32 v14, vcc_lo, v16, v14
	v_add_co_ci_u32_e32 v15, vcc_lo, v17, v15, vcc_lo
	s_clause 0x1
	global_load_b128 v[8:11], v[8:9], off
	global_load_b128 v[100:103], v[14:15], off
	v_lshlrev_b64 v[14:15], 2, v[96:97]
	v_add_nc_u32_e32 v96, s14, v96
	s_delay_alu instid0(VALU_DEP_2) | instskip(NEXT) | instid1(VALU_DEP_3)
	v_add_co_u32 v14, vcc_lo, v16, v14
	v_add_co_ci_u32_e32 v15, vcc_lo, v17, v15, vcc_lo
	global_load_b128 v[104:107], v[14:15], off
	v_mad_u64_u32 v[14:15], null, v18, s15, v[0:1]
	v_mov_b32_e32 v15, v97
	s_delay_alu instid0(VALU_DEP_1) | instskip(NEXT) | instid1(VALU_DEP_1)
	v_lshlrev_b64 v[14:15], 2, v[14:15]
	v_add_co_u32 v98, vcc_lo, s10, v14
	s_delay_alu instid0(VALU_DEP_2)
	v_add_co_ci_u32_e32 v99, vcc_lo, s11, v15, vcc_lo
	v_add_co_u32 v0, vcc_lo, v16, v1
	v_add_co_ci_u32_e32 v1, vcc_lo, v17, v2, vcc_lo
	v_add_co_u32 v12, vcc_lo, v16, v12
	v_add_co_ci_u32_e32 v13, vcc_lo, v17, v13, vcc_lo
	s_clause 0x1
	global_load_b128 v[108:111], v[0:1], off
	global_load_b128 v[112:115], v[12:13], off
	s_waitcnt vmcnt(5)
	v_mad_u64_u32 v[140:141], null, v19, s15, v[3:4]
	v_mov_b32_e32 v141, v97
	v_lshlrev_b64 v[18:19], 2, v[96:97]
	v_add_nc_u32_e32 v96, s14, v96
	ds_swizzle_b32 v2, v4 offset:50688
	ds_swizzle_b32 v70, v5 offset:50688
	;; [unrolled: 1-line block ×3, first 2 shown]
	v_lshlrev_b64 v[14:15], 2, v[140:141]
	v_lshlrev_b64 v[0:1], 2, v[96:97]
	v_add_nc_u32_e32 v96, s14, v96
	ds_swizzle_b32 v76, v7 offset:50688
	v_mul_f32_e64 v3, s0, 0
	v_add_co_u32 v141, vcc_lo, v98, v14
	v_add_co_ci_u32_e32 v142, vcc_lo, v99, v15, vcc_lo
	v_add_co_u32 v12, vcc_lo, v16, v18
	v_add_co_ci_u32_e32 v13, vcc_lo, v17, v19, vcc_lo
	;; [unrolled: 2-line block ×3, first 2 shown]
	s_clause 0x1
	global_load_b128 v[116:119], v[12:13], off
	global_load_b128 v[120:123], v[0:1], off
	v_lshlrev_b64 v[14:15], 2, v[96:97]
	v_add_nc_u32_e32 v96, s14, v96
	s_waitcnt vmcnt(6)
	ds_swizzle_b32 v77, v8 offset:50688
	s_waitcnt lgkmcnt(4)
	v_mov_b32_dpp v8, v2 quad_perm:[0,1,2,3] row_mask:0x5 bank_mask:0xf
	ds_swizzle_b32 v2, v9 offset:50688
	ds_swizzle_b32 v78, v10 offset:50688
	v_lshlrev_b64 v[18:19], 2, v[96:97]
	v_add_nc_u32_e32 v96, s14, v96
	v_add_co_u32 v14, vcc_lo, v16, v14
	v_add_co_ci_u32_e32 v15, vcc_lo, v17, v15, vcc_lo
	s_delay_alu instid0(VALU_DEP_3) | instskip(SKIP_3) | instid1(VALU_DEP_3)
	v_lshlrev_b64 v[0:1], 2, v[96:97]
	v_add_nc_u32_e32 v96, s14, v96
	v_add_co_u32 v12, vcc_lo, v16, v18
	v_add_co_ci_u32_e32 v13, vcc_lo, v17, v19, vcc_lo
	v_lshlrev_b64 v[18:19], 2, v[96:97]
	v_add_nc_u32_e32 v96, s14, v96
	v_add_co_u32 v0, vcc_lo, v16, v0
	s_clause 0x1
	global_load_b128 v[92:95], v[14:15], off
	global_load_b128 v[32:35], v[12:13], off
	v_add_co_ci_u32_e32 v1, vcc_lo, v17, v1, vcc_lo
	v_lshlrev_b64 v[12:13], 2, v[96:97]
	v_add_nc_u32_e32 v96, s14, v96
	v_add_co_u32 v14, vcc_lo, v16, v18
	v_add_co_ci_u32_e32 v15, vcc_lo, v17, v19, vcc_lo
	s_delay_alu instid0(VALU_DEP_3)
	v_lshlrev_b64 v[18:19], 2, v[96:97]
	v_add_nc_u32_e32 v96, s14, v96
	v_add_co_u32 v20, vcc_lo, v16, v12
	v_add_co_ci_u32_e32 v21, vcc_lo, v17, v13, vcc_lo
	s_clause 0x1
	global_load_b128 v[40:43], v[0:1], off
	global_load_b128 v[12:15], v[14:15], off
	v_lshlrev_b64 v[0:1], 2, v[96:97]
	v_add_nc_u32_e32 v96, s14, v96
	v_add_co_u32 v18, vcc_lo, v16, v18
	v_add_co_ci_u32_e32 v19, vcc_lo, v17, v19, vcc_lo
	s_delay_alu instid0(VALU_DEP_3)
	v_lshlrev_b64 v[22:23], 2, v[96:97]
	v_add_nc_u32_e32 v96, s14, v96
	v_add_co_u32 v0, vcc_lo, v16, v0
	s_clause 0x1
	global_load_b128 v[124:127], v[20:21], off
	global_load_b128 v[128:131], v[18:19], off
	v_add_co_ci_u32_e32 v1, vcc_lo, v17, v1, vcc_lo
	v_lshlrev_b64 v[18:19], 2, v[96:97]
	v_add_nc_u32_e32 v96, s14, v96
	v_add_co_u32 v20, vcc_lo, v16, v22
	v_add_co_ci_u32_e32 v21, vcc_lo, v17, v23, vcc_lo
	s_delay_alu instid0(VALU_DEP_3)
	v_lshlrev_b64 v[22:23], 2, v[96:97]
	v_add_nc_u32_e32 v96, s14, v96
	v_add_co_u32 v18, vcc_lo, v16, v18
	s_clause 0x1
	global_load_b128 v[48:51], v[0:1], off
	global_load_b128 v[24:27], v[20:21], off
	v_add_co_ci_u32_e32 v19, vcc_lo, v17, v19, vcc_lo
	v_lshlrev_b64 v[0:1], 2, v[96:97]
	v_add_nc_u32_e32 v96, s14, v96
	v_add_co_u32 v20, vcc_lo, v16, v22
	v_add_co_ci_u32_e32 v21, vcc_lo, v17, v23, vcc_lo
	s_delay_alu instid0(VALU_DEP_3)
	v_lshlrev_b64 v[22:23], 2, v[96:97]
	v_add_nc_u32_e32 v96, s14, v96
	s_clause 0x1
	global_load_b128 v[88:91], v[18:19], off
	global_load_b128 v[72:75], v[20:21], off
	v_add_co_u32 v0, vcc_lo, v16, v0
	v_add_co_ci_u32_e32 v1, vcc_lo, v17, v1, vcc_lo
	v_lshlrev_b64 v[18:19], 2, v[96:97]
	v_add_nc_u32_e32 v96, s14, v96
	v_add_co_u32 v20, vcc_lo, v16, v22
	v_add_co_ci_u32_e32 v21, vcc_lo, v17, v23, vcc_lo
	s_delay_alu instid0(VALU_DEP_3)
	v_lshlrev_b64 v[28:29], 2, v[96:97]
	v_add_nc_u32_e32 v96, s14, v96
	s_clause 0x1
	global_load_b128 v[64:67], v[0:1], off
	global_load_b128 v[20:23], v[20:21], off
	v_add_co_u32 v18, vcc_lo, v16, v18
	;; [unrolled: 12-line block ×4, first 2 shown]
	v_add_co_ci_u32_e32 v19, vcc_lo, v17, v19, vcc_lo
	v_lshlrev_b64 v[0:1], 2, v[96:97]
	v_add_nc_u32_e32 v96, s14, v96
	v_add_co_u32 v36, vcc_lo, v16, v36
	v_add_co_ci_u32_e32 v37, vcc_lo, v17, v37, vcc_lo
	s_delay_alu instid0(VALU_DEP_3)
	v_lshlrev_b64 v[38:39], 2, v[96:97]
	v_add_nc_u32_e32 v96, s14, v96
	s_clause 0x1
	global_load_b128 v[80:83], v[18:19], off
	global_load_b128 v[44:47], v[36:37], off
	ds_swizzle_b32 v79, v11 offset:50688
	v_add_co_u32 v0, vcc_lo, v16, v0
	v_lshlrev_b64 v[18:19], 2, v[96:97]
	v_add_nc_u32_e32 v96, s14, v96
	v_add_co_ci_u32_e32 v1, vcc_lo, v17, v1, vcc_lo
	v_add_co_u32 v36, vcc_lo, v16, v38
	s_delay_alu instid0(VALU_DEP_3)
	v_lshlrev_b64 v[68:69], 2, v[96:97]
	v_add_nc_u32_e32 v96, s14, v96
	v_add_co_ci_u32_e32 v37, vcc_lo, v17, v39, vcc_lo
	s_clause 0x1
	global_load_b128 v[52:55], v[0:1], off
	global_load_b128 v[36:39], v[36:37], off
	v_lshlrev_b64 v[0:1], 2, v[96:97]
	s_waitcnt lgkmcnt(6)
	v_mov_b32_dpp v9, v70 quad_perm:[0,1,2,3] row_mask:0x5 bank_mask:0xf
	s_waitcnt lgkmcnt(5)
	v_mov_b32_dpp v10, v71 quad_perm:[0,1,2,3] row_mask:0x5 bank_mask:0xf
	;; [unrolled: 2-line block ×3, first 2 shown]
	v_add_nc_u32_e32 v96, s14, v96
	v_add_co_u32 v18, vcc_lo, v16, v18
	v_add_co_ci_u32_e32 v19, vcc_lo, v17, v19, vcc_lo
	v_fma_f32 v132, s1, v8, v3
	v_fma_f32 v133, s1, v9, v3
	;; [unrolled: 1-line block ×4, first 2 shown]
	v_add_co_u32 v68, vcc_lo, v16, v68
	s_waitcnt lgkmcnt(3)
	v_mov_b32_dpp v77, v4 quad_perm:[0,1,2,3] row_mask:0x5 bank_mask:0xf
	s_waitcnt lgkmcnt(2)
	v_mov_b32_dpp v2, v5 quad_perm:[0,1,2,3] row_mask:0x5 bank_mask:0xf
	v_lshlrev_b64 v[4:5], 2, v[96:97]
	v_add_co_ci_u32_e32 v69, vcc_lo, v17, v69, vcc_lo
	v_add_co_u32 v0, vcc_lo, v16, v0
	ds_swizzle_b32 v136, v132 offset:50688
	ds_swizzle_b32 v137, v133 offset:50688
	;; [unrolled: 1-line block ×4, first 2 shown]
	s_waitcnt lgkmcnt(5)
	v_mov_b32_dpp v78, v6 quad_perm:[0,1,2,3] row_mask:0x5 bank_mask:0xf
	s_waitcnt lgkmcnt(4)
	v_mov_b32_dpp v79, v7 quad_perm:[0,1,2,3] row_mask:0x5 bank_mask:0xf
	v_add_co_ci_u32_e32 v1, vcc_lo, v17, v1, vcc_lo
	v_add_co_u32 v4, vcc_lo, v16, v4
	v_add_co_ci_u32_e32 v5, vcc_lo, v17, v5, vcc_lo
	v_fma_f32 v143, s1, v77, v3
	v_fma_f32 v144, s1, v78, v3
	;; [unrolled: 1-line block ×3, first 2 shown]
	s_clause 0x3
	global_load_b128 v[8:11], v[18:19], off
	global_load_b128 v[76:79], v[68:69], off
	;; [unrolled: 1-line block ×4, first 2 shown]
	s_waitcnt vmcnt(29)
	ds_swizzle_b32 v0, v100 offset:50688
	v_fma_f32 v2, s1, v2, v3
	v_add_nc_u32_e32 v96, s15, v140
	s_waitcnt lgkmcnt(4)
	v_mov_b32_dpp v136, v143 quad_perm:[0,1,2,3] row_mask:0x5 bank_mask:0xf
	s_waitcnt lgkmcnt(3)
	v_mov_b32_dpp v137, v2 quad_perm:[0,1,2,3] row_mask:0x5 bank_mask:0xf
	;; [unrolled: 2-line block ×4, first 2 shown]
	ds_swizzle_b32 v2, v2 offset:50688
	global_store_b128 v[141:142], v[136:139], off
	s_waitcnt vmcnt(28)
	ds_swizzle_b32 v136, v104 offset:50688
	ds_swizzle_b32 v137, v105 offset:50688
	;; [unrolled: 1-line block ×4, first 2 shown]
	s_waitcnt lgkmcnt(5)
	v_mov_b32_dpp v104, v0 quad_perm:[0,1,2,3] row_mask:0x5 bank_mask:0xf
	ds_swizzle_b32 v0, v101 offset:50688
	v_fma_f32 v4, s1, v104, v3
	s_waitcnt lgkmcnt(5)
	v_mov_b32_dpp v133, v2 quad_perm:[0,1,2,3] row_mask:0x5 bank_mask:0xf
	s_waitcnt lgkmcnt(4)
	v_mov_b32_dpp v136, v100 quad_perm:[0,1,2,3] row_mask:0x5 bank_mask:0xf
	;; [unrolled: 2-line block ×5, first 2 shown]
	ds_swizzle_b32 v100, v4 offset:50688
	v_fma_f32 v136, s1, v136, v3
	v_fma_f32 v137, s1, v137, v3
	s_waitcnt lgkmcnt(1)
	v_mov_b32_dpp v105, v0 quad_perm:[0,1,2,3] row_mask:0x5 bank_mask:0xf
	ds_swizzle_b32 v0, v102 offset:50688
	v_fma_f32 v138, s1, v138, v3
	v_fma_f32 v139, s1, v139, v3
	v_fma_f32 v5, s1, v105, v3
	ds_swizzle_b32 v101, v5 offset:50688
	s_waitcnt lgkmcnt(2)
	v_mov_b32_dpp v100, v136 quad_perm:[0,1,2,3] row_mask:0x5 bank_mask:0xf
	s_waitcnt lgkmcnt(1)
	v_mov_b32_dpp v106, v0 quad_perm:[0,1,2,3] row_mask:0x5 bank_mask:0xf
	ds_swizzle_b32 v0, v103 offset:50688
	v_fma_f32 v6, s1, v106, v3
	s_waitcnt lgkmcnt(1)
	v_mov_b32_dpp v101, v137 quad_perm:[0,1,2,3] row_mask:0x5 bank_mask:0xf
	ds_swizzle_b32 v102, v6 offset:50688
	s_waitcnt lgkmcnt(1)
	v_mov_b32_dpp v107, v0 quad_perm:[0,1,2,3] row_mask:0x5 bank_mask:0xf
	v_lshlrev_b64 v[0:1], 2, v[96:97]
	v_add_nc_u32_e32 v96, s15, v96
	s_delay_alu instid0(VALU_DEP_3) | instskip(NEXT) | instid1(VALU_DEP_3)
	v_fma_f32 v7, s1, v107, v3
	v_add_co_u32 v0, vcc_lo, v98, v0
	s_delay_alu instid0(VALU_DEP_4)
	v_add_co_ci_u32_e32 v1, vcc_lo, v99, v1, vcc_lo
	ds_swizzle_b32 v103, v7 offset:50688
	s_waitcnt lgkmcnt(1)
	v_mov_b32_dpp v102, v138 quad_perm:[0,1,2,3] row_mask:0x5 bank_mask:0xf
	s_waitcnt lgkmcnt(0)
	v_mov_b32_dpp v103, v139 quad_perm:[0,1,2,3] row_mask:0x5 bank_mask:0xf
	global_store_b128 v[0:1], v[100:103], off
	s_waitcnt vmcnt(27)
	ds_swizzle_b32 v0, v108 offset:50688
	ds_swizzle_b32 v1, v109 offset:50688
	;; [unrolled: 1-line block ×3, first 2 shown]
	s_waitcnt vmcnt(25)
	ds_swizzle_b32 v140, v116 offset:50688
	s_waitcnt lgkmcnt(3)
	v_mov_b32_dpp v116, v0 quad_perm:[0,1,2,3] row_mask:0x5 bank_mask:0xf
	ds_swizzle_b32 v0, v111 offset:50688
	ds_swizzle_b32 v141, v117 offset:50688
	s_waitcnt lgkmcnt(4)
	v_mov_b32_dpp v117, v1 quad_perm:[0,1,2,3] row_mask:0x5 bank_mask:0xf
	ds_swizzle_b32 v142, v118 offset:50688
	s_waitcnt lgkmcnt(4)
	v_mov_b32_dpp v118, v100 quad_perm:[0,1,2,3] row_mask:0x5 bank_mask:0xf
	ds_swizzle_b32 v146, v119 offset:50688
	v_fma_f32 v100, s1, v116, v3
	v_fma_f32 v101, s1, v117, v3
	;; [unrolled: 1-line block ×3, first 2 shown]
	ds_swizzle_b32 v104, v100 offset:50688
	ds_swizzle_b32 v105, v101 offset:50688
	;; [unrolled: 1-line block ×3, first 2 shown]
	s_waitcnt lgkmcnt(7)
	v_mov_b32_dpp v140, v108 quad_perm:[0,1,2,3] row_mask:0x5 bank_mask:0xf
	s_waitcnt lgkmcnt(6)
	v_mov_b32_dpp v119, v0 quad_perm:[0,1,2,3] row_mask:0x5 bank_mask:0xf
	;; [unrolled: 2-line block ×3, first 2 shown]
	v_lshlrev_b64 v[0:1], 2, v[96:97]
	s_waitcnt lgkmcnt(4)
	v_mov_b32_dpp v142, v110 quad_perm:[0,1,2,3] row_mask:0x5 bank_mask:0xf
	v_fma_f32 v116, s1, v140, v3
	v_fma_f32 v103, s1, v119, v3
	s_waitcnt lgkmcnt(3)
	v_mov_b32_dpp v146, v111 quad_perm:[0,1,2,3] row_mask:0x5 bank_mask:0xf
	v_fma_f32 v117, s1, v141, v3
	v_fma_f32 v118, s1, v142, v3
	v_add_co_u32 v0, vcc_lo, v98, v0
	ds_swizzle_b32 v107, v103 offset:50688
	v_fma_f32 v119, s1, v146, v3
	v_add_co_ci_u32_e32 v1, vcc_lo, v99, v1, vcc_lo
	s_waitcnt lgkmcnt(3)
	v_mov_b32_dpp v104, v116 quad_perm:[0,1,2,3] row_mask:0x5 bank_mask:0xf
	s_waitcnt lgkmcnt(2)
	v_mov_b32_dpp v105, v117 quad_perm:[0,1,2,3] row_mask:0x5 bank_mask:0xf
	;; [unrolled: 2-line block ×3, first 2 shown]
	s_waitcnt vmcnt(24)
	ds_swizzle_b32 v140, v122 offset:50688
	v_add_nc_u32_e32 v96, s15, v96
	ds_swizzle_b32 v2, v116 offset:50688
	ds_swizzle_b32 v116, v117 offset:50688
	;; [unrolled: 1-line block ×4, first 2 shown]
	s_waitcnt lgkmcnt(5)
	v_mov_b32_dpp v107, v119 quad_perm:[0,1,2,3] row_mask:0x5 bank_mask:0xf
	s_waitcnt vmcnt(19)
	ds_swizzle_b32 v119, v126 offset:50688
	global_store_b128 v[0:1], v[104:107], off
	ds_swizzle_b32 v0, v112 offset:50688
	ds_swizzle_b32 v1, v113 offset:50688
	;; [unrolled: 1-line block ×5, first 2 shown]
	s_waitcnt lgkmcnt(10)
	v_mov_b32_dpp v140, v114 quad_perm:[0,1,2,3] row_mask:0x5 bank_mask:0xf
	s_waitcnt lgkmcnt(9)
	v_mov_b32_dpp v100, v2 quad_perm:[0,1,2,3] row_mask:0x5 bank_mask:0xf
	;; [unrolled: 2-line block ×5, first 2 shown]
	ds_swizzle_b32 v117, v124 offset:50688
	ds_swizzle_b32 v118, v125 offset:50688
	s_waitcnt lgkmcnt(7)
	v_mov_b32_dpp v119, v94 quad_perm:[0,1,2,3] row_mask:0x5 bank_mask:0xf
	s_waitcnt lgkmcnt(6)
	v_mov_b32_dpp v120, v0 quad_perm:[0,1,2,3] row_mask:0x5 bank_mask:0xf
	ds_swizzle_b32 v0, v115 offset:50688
	s_waitcnt lgkmcnt(6)
	v_mov_b32_dpp v121, v1 quad_perm:[0,1,2,3] row_mask:0x5 bank_mask:0xf
	s_waitcnt lgkmcnt(5)
	v_mov_b32_dpp v122, v104 quad_perm:[0,1,2,3] row_mask:0x5 bank_mask:0xf
	ds_swizzle_b32 v104, v123 offset:50688
	v_fma_f32 v107, s1, v120, v3
	s_waitcnt lgkmcnt(5)
	v_mov_b32_dpp v105, v112 quad_perm:[0,1,2,3] row_mask:0x5 bank_mask:0xf
	v_fma_f32 v108, s1, v121, v3
	v_fma_f32 v109, s1, v122, v3
	s_waitcnt lgkmcnt(4)
	v_mov_b32_dpp v106, v113 quad_perm:[0,1,2,3] row_mask:0x5 bank_mask:0xf
	ds_swizzle_b32 v111, v107 offset:50688
	v_fma_f32 v120, s1, v140, v3
	ds_swizzle_b32 v112, v108 offset:50688
	ds_swizzle_b32 v113, v109 offset:50688
	v_fma_f32 v106, s1, v106, v3
	ds_swizzle_b32 v122, v138 offset:50688
	s_waitcnt lgkmcnt(7)
	v_mov_b32_dpp v117, v92 quad_perm:[0,1,2,3] row_mask:0x5 bank_mask:0xf
	s_waitcnt lgkmcnt(6)
	v_mov_b32_dpp v118, v93 quad_perm:[0,1,2,3] row_mask:0x5 bank_mask:0xf
	;; [unrolled: 2-line block ×3, first 2 shown]
	v_lshlrev_b64 v[0:1], 2, v[96:97]
	v_add_nc_u32_e32 v96, s15, v96
	s_waitcnt lgkmcnt(4)
	v_mov_b32_dpp v104, v115 quad_perm:[0,1,2,3] row_mask:0x5 bank_mask:0xf
	v_fma_f32 v115, s1, v105, v3
	v_fma_f32 v110, s1, v123, v3
	ds_swizzle_b32 v105, v144 offset:50688
	v_add_co_u32 v0, vcc_lo, v98, v0
	v_fma_f32 v121, s1, v104, v3
	ds_swizzle_b32 v114, v110 offset:50688
	v_add_co_ci_u32_e32 v1, vcc_lo, v99, v1, vcc_lo
	s_waitcnt lgkmcnt(5)
	v_mov_b32_dpp v111, v115 quad_perm:[0,1,2,3] row_mask:0x5 bank_mask:0xf
	s_waitcnt lgkmcnt(4)
	v_mov_b32_dpp v112, v106 quad_perm:[0,1,2,3] row_mask:0x5 bank_mask:0xf
	;; [unrolled: 2-line block ×3, first 2 shown]
	ds_swizzle_b32 v104, v143 offset:50688
	ds_swizzle_b32 v2, v115 offset:50688
	;; [unrolled: 1-line block ×7, first 2 shown]
	s_waitcnt lgkmcnt(9)
	v_mov_b32_dpp v6, v122 quad_perm:[0,1,2,3] row_mask:0x5 bank_mask:0xf
	ds_swizzle_b32 v122, v93 offset:50688
	s_waitcnt lgkmcnt(9)
	v_mov_b32_dpp v134, v105 quad_perm:[0,1,2,3] row_mask:0x5 bank_mask:0xf
	s_waitcnt lgkmcnt(8)
	v_mov_b32_dpp v114, v121 quad_perm:[0,1,2,3] row_mask:0x5 bank_mask:0xf
	ds_swizzle_b32 v121, v92 offset:50688
	global_store_b128 v[0:1], v[111:114], off
	ds_swizzle_b32 v111, v145 offset:50688
	ds_swizzle_b32 v113, v136 offset:50688
	;; [unrolled: 1-line block ×3, first 2 shown]
	v_lshlrev_b64 v[0:1], 2, v[96:97]
	v_add_nc_u32_e32 v96, s15, v96
	s_waitcnt lgkmcnt(11)
	v_mov_b32_dpp v132, v104 quad_perm:[0,1,2,3] row_mask:0x5 bank_mask:0xf
	s_waitcnt lgkmcnt(9)
	v_mov_b32_dpp v108, v106 quad_perm:[0,1,2,3] row_mask:0x5 bank_mask:0xf
	;; [unrolled: 2-line block ×3, first 2 shown]
	ds_swizzle_b32 v106, v34 offset:50688
	v_lshlrev_b64 v[104:105], 2, v[96:97]
	v_add_nc_u32_e32 v96, s15, v96
	v_add_co_u32 v0, vcc_lo, v98, v0
	v_add_co_ci_u32_e32 v1, vcc_lo, v99, v1, vcc_lo
	s_delay_alu instid0(VALU_DEP_4)
	v_add_co_u32 v104, vcc_lo, v98, v104
	v_add_co_ci_u32_e32 v105, vcc_lo, v99, v105, vcc_lo
	ds_swizzle_b32 v115, v35 offset:50688
	s_waitcnt lgkmcnt(4)
	v_mov_b32_dpp v135, v111 quad_perm:[0,1,2,3] row_mask:0x5 bank_mask:0xf
	v_lshlrev_b64 v[111:112], 2, v[96:97]
	s_waitcnt lgkmcnt(3)
	v_mov_b32_dpp v4, v113 quad_perm:[0,1,2,3] row_mask:0x5 bank_mask:0xf
	s_waitcnt lgkmcnt(2)
	v_mov_b32_dpp v5, v114 quad_perm:[0,1,2,3] row_mask:0x5 bank_mask:0xf
	v_mov_b32_dpp v7, v123 quad_perm:[0,1,2,3] row_mask:0x5 bank_mask:0xf
	ds_swizzle_b32 v123, v94 offset:50688
	ds_swizzle_b32 v136, v95 offset:50688
	v_add_co_u32 v111, vcc_lo, v98, v111
	v_add_co_ci_u32_e32 v112, vcc_lo, v99, v112, vcc_lo
	s_clause 0x2
	global_store_b128 v[0:1], v[132:135], off
	global_store_b128 v[104:105], v[4:7], off
	;; [unrolled: 1-line block ×3, first 2 shown]
	v_mov_b32_dpp v120, v95 quad_perm:[0,1,2,3] row_mask:0x5 bank_mask:0xf
	s_waitcnt vmcnt(18)
	ds_swizzle_b32 v95, v130 offset:50688
	ds_swizzle_b32 v101, v131 offset:50688
	;; [unrolled: 1-line block ×4, first 2 shown]
	v_mov_b32_dpp v107, v2 quad_perm:[0,1,2,3] row_mask:0x5 bank_mask:0xf
	ds_swizzle_b32 v2, v128 offset:50688
	ds_swizzle_b32 v94, v129 offset:50688
	v_mov_b32_dpp v124, v121 quad_perm:[0,1,2,3] row_mask:0x5 bank_mask:0xf
	s_waitcnt lgkmcnt(9)
	v_mov_b32_dpp v130, v106 quad_perm:[0,1,2,3] row_mask:0x5 bank_mask:0xf
	s_waitcnt lgkmcnt(8)
	v_mov_b32_dpp v131, v115 quad_perm:[0,1,2,3] row_mask:0x5 bank_mask:0xf
	v_add_nc_u32_e32 v96, s15, v96
	s_waitcnt lgkmcnt(7)
	v_mov_b32_dpp v126, v123 quad_perm:[0,1,2,3] row_mask:0x5 bank_mask:0xf
	v_fma_f32 v4, s1, v124, v3
	ds_swizzle_b32 v123, v40 offset:50688
	ds_swizzle_b32 v124, v41 offset:50688
	s_waitcnt lgkmcnt(8)
	v_mov_b32_dpp v127, v136 quad_perm:[0,1,2,3] row_mask:0x5 bank_mask:0xf
	v_fma_f32 v6, s1, v126, v3
	s_waitcnt vmcnt(17)
	ds_swizzle_b32 v126, v48 offset:50688
	v_lshlrev_b64 v[113:114], 2, v[96:97]
	v_add_nc_u32_e32 v96, s15, v96
	s_waitcnt lgkmcnt(8)
	v_mov_b32_dpp v95, v34 quad_perm:[0,1,2,3] row_mask:0x5 bank_mask:0xf
	s_waitcnt lgkmcnt(7)
	v_mov_b32_dpp v101, v35 quad_perm:[0,1,2,3] row_mask:0x5 bank_mask:0xf
	v_fma_f32 v34, s1, v130, v3
	v_fma_f32 v35, s1, v131, v3
	ds_swizzle_b32 v130, v42 offset:50688
	ds_swizzle_b32 v131, v43 offset:50688
	s_waitcnt lgkmcnt(8)
	v_mov_b32_dpp v128, v102 quad_perm:[0,1,2,3] row_mask:0x5 bank_mask:0xf
	s_waitcnt lgkmcnt(7)
	v_mov_b32_dpp v129, v104 quad_perm:[0,1,2,3] row_mask:0x5 bank_mask:0xf
	v_fma_f32 v7, s1, v127, v3
	ds_swizzle_b32 v127, v49 offset:50688
	s_waitcnt lgkmcnt(7)
	v_mov_b32_dpp v2, v32 quad_perm:[0,1,2,3] row_mask:0x5 bank_mask:0xf
	s_waitcnt lgkmcnt(6)
	v_mov_b32_dpp v94, v33 quad_perm:[0,1,2,3] row_mask:0x5 bank_mask:0xf
	v_fma_f32 v32, s1, v128, v3
	v_fma_f32 v33, s1, v129, v3
	ds_swizzle_b32 v128, v50 offset:50688
	ds_swizzle_b32 v129, v51 offset:50688
	v_mov_b32_dpp v125, v122 quad_perm:[0,1,2,3] row_mask:0x5 bank_mask:0xf
	s_waitcnt lgkmcnt(7)
	v_mov_b32_dpp v48, v123 quad_perm:[0,1,2,3] row_mask:0x5 bank_mask:0xf
	s_waitcnt lgkmcnt(6)
	v_mov_b32_dpp v49, v124 quad_perm:[0,1,2,3] row_mask:0x5 bank_mask:0xf
	v_lshlrev_b64 v[92:93], 2, v[96:97]
	v_add_co_u32 v0, vcc_lo, v98, v113
	v_fma_f32 v5, s1, v125, v3
	v_add_nc_u32_e32 v96, s15, v96
	s_waitcnt lgkmcnt(4)
	v_mov_b32_dpp v50, v130 quad_perm:[0,1,2,3] row_mask:0x5 bank_mask:0xf
	s_waitcnt lgkmcnt(3)
	v_mov_b32_dpp v51, v131 quad_perm:[0,1,2,3] row_mask:0x5 bank_mask:0xf
	v_fma_f32 v48, s1, v48, v3
	v_fma_f32 v49, s1, v49, v3
	v_add_co_ci_u32_e32 v1, vcc_lo, v99, v114, vcc_lo
	v_fma_f32 v50, s1, v50, v3
	v_fma_f32 v51, s1, v51, v3
	;; [unrolled: 1-line block ×3, first 2 shown]
	v_add_co_u32 v119, vcc_lo, v98, v92
	s_waitcnt lgkmcnt(2)
	v_mov_b32_dpp v127, v41 quad_perm:[0,1,2,3] row_mask:0x5 bank_mask:0xf
	ds_swizzle_b32 v111, v4 offset:50688
	ds_swizzle_b32 v112, v5 offset:50688
	;; [unrolled: 1-line block ×4, first 2 shown]
	v_mov_b32_dpp v110, v116 quad_perm:[0,1,2,3] row_mask:0x5 bank_mask:0xf
	v_fma_f32 v125, s1, v117, v3
	v_fma_f32 v105, s1, v118, v3
	;; [unrolled: 1-line block ×3, first 2 shown]
	v_add_co_ci_u32_e32 v120, vcc_lo, v99, v93, vcc_lo
	v_lshlrev_b64 v[92:93], 2, v[96:97]
	ds_swizzle_b32 v115, v32 offset:50688
	ds_swizzle_b32 v116, v33 offset:50688
	;; [unrolled: 1-line block ×4, first 2 shown]
	v_mov_b32_dpp v126, v40 quad_perm:[0,1,2,3] row_mask:0x5 bank_mask:0xf
	s_waitcnt lgkmcnt(9)
	v_mov_b32_dpp v128, v42 quad_perm:[0,1,2,3] row_mask:0x5 bank_mask:0xf
	s_waitcnt lgkmcnt(8)
	v_mov_b32_dpp v129, v43 quad_perm:[0,1,2,3] row_mask:0x5 bank_mask:0xf
	ds_swizzle_b32 v40, v48 offset:50688
	ds_swizzle_b32 v41, v49 offset:50688
	;; [unrolled: 1-line block ×4, first 2 shown]
	v_fma_f32 v106, s1, v2, v3
	v_fma_f32 v102, s1, v95, v3
	;; [unrolled: 1-line block ×3, first 2 shown]
	s_waitcnt vmcnt(15)
	ds_swizzle_b32 v2, v88 offset:50688
	ds_swizzle_b32 v127, v90 offset:50688
	v_add_co_u32 v121, vcc_lo, v98, v92
	v_add_co_ci_u32_e32 v122, vcc_lo, v99, v93, vcc_lo
	v_add_nc_u32_e32 v96, s15, v96
	v_fma_f32 v93, s1, v128, v3
	s_waitcnt vmcnt(11)
	ds_swizzle_b32 v128, v84 offset:50688
	v_fma_f32 v104, s1, v94, v3
	v_fma_f32 v94, s1, v101, v3
	v_lshlrev_b64 v[123:124], 2, v[96:97]
	v_fma_f32 v101, s1, v126, v3
	v_fma_f32 v92, s1, v129, v3
	ds_swizzle_b32 v132, v91 offset:50688
	s_waitcnt lgkmcnt(15)
	v_mov_b32_dpp v111, v125 quad_perm:[0,1,2,3] row_mask:0x5 bank_mask:0xf
	s_waitcnt lgkmcnt(14)
	v_mov_b32_dpp v112, v105 quad_perm:[0,1,2,3] row_mask:0x5 bank_mask:0xf
	;; [unrolled: 2-line block ×4, first 2 shown]
	v_add_co_u32 v123, vcc_lo, v98, v123
	s_waitcnt lgkmcnt(11)
	v_mov_b32_dpp v115, v106 quad_perm:[0,1,2,3] row_mask:0x5 bank_mask:0xf
	s_waitcnt lgkmcnt(10)
	v_mov_b32_dpp v116, v104 quad_perm:[0,1,2,3] row_mask:0x5 bank_mask:0xf
	;; [unrolled: 2-line block ×4, first 2 shown]
	v_add_co_ci_u32_e32 v124, vcc_lo, v99, v124, vcc_lo
	s_waitcnt lgkmcnt(7)
	v_mov_b32_dpp v40, v101 quad_perm:[0,1,2,3] row_mask:0x5 bank_mask:0xf
	s_waitcnt lgkmcnt(6)
	v_mov_b32_dpp v41, v95 quad_perm:[0,1,2,3] row_mask:0x5 bank_mask:0xf
	;; [unrolled: 2-line block ×4, first 2 shown]
	ds_swizzle_b32 v126, v89 offset:50688
	ds_swizzle_b32 v130, v86 offset:50688
	;; [unrolled: 1-line block ×3, first 2 shown]
	s_clause 0x3
	global_store_b128 v[0:1], v[107:110], off
	global_store_b128 v[119:120], v[111:114], off
	;; [unrolled: 1-line block ×4, first 2 shown]
	s_waitcnt lgkmcnt(6)
	v_mov_b32_dpp v84, v2 quad_perm:[0,1,2,3] row_mask:0x5 bank_mask:0xf
	s_waitcnt lgkmcnt(5)
	v_mov_b32_dpp v86, v127 quad_perm:[0,1,2,3] row_mask:0x5 bank_mask:0xf
	s_waitcnt vmcnt(7)
	ds_swizzle_b32 v0, v80 offset:50688
	ds_swizzle_b32 v2, v82 offset:50688
	;; [unrolled: 1-line block ×3, first 2 shown]
	s_waitcnt lgkmcnt(7)
	v_mov_b32_dpp v128, v88 quad_perm:[0,1,2,3] row_mask:0x5 bank_mask:0xf
	s_waitcnt vmcnt(3)
	ds_swizzle_b32 v88, v8 offset:50688
	v_fma_f32 v42, s1, v86, v3
	ds_swizzle_b32 v86, v74 offset:50688
	ds_swizzle_b32 v109, v62 offset:50688
	s_waitcnt lgkmcnt(9)
	v_mov_b32_dpp v87, v132 quad_perm:[0,1,2,3] row_mask:0x5 bank_mask:0xf
	ds_swizzle_b32 v129, v85 offset:50688
	v_fma_f32 v40, s1, v84, v3
	ds_swizzle_b32 v84, v72 offset:50688
	ds_swizzle_b32 v111, v75 offset:50688
	v_fma_f32 v43, s1, v87, v3
	s_waitcnt lgkmcnt(11)
	v_mov_b32_dpp v85, v126 quad_perm:[0,1,2,3] row_mask:0x5 bank_mask:0xf
	s_waitcnt lgkmcnt(10)
	v_mov_b32_dpp v130, v90 quad_perm:[0,1,2,3] row_mask:0x5 bank_mask:0xf
	;; [unrolled: 2-line block ×3, first 2 shown]
	ds_swizzle_b32 v90, v10 offset:50688
	ds_swizzle_b32 v91, v83 offset:50688
	;; [unrolled: 1-line block ×3, first 2 shown]
	s_waitcnt lgkmcnt(11)
	v_mov_b32_dpp v8, v0 quad_perm:[0,1,2,3] row_mask:0x5 bank_mask:0xf
	s_waitcnt lgkmcnt(10)
	v_mov_b32_dpp v10, v2 quad_perm:[0,1,2,3] row_mask:0x5 bank_mask:0xf
	;; [unrolled: 2-line block ×3, first 2 shown]
	ds_swizzle_b32 v0, v44 offset:50688
	ds_swizzle_b32 v2, v46 offset:50688
	;; [unrolled: 1-line block ×4, first 2 shown]
	v_fma_f32 v41, s1, v85, v3
	ds_swizzle_b32 v85, v73 offset:50688
	s_waitcnt lgkmcnt(13)
	v_mov_b32_dpp v88, v80 quad_perm:[0,1,2,3] row_mask:0x5 bank_mask:0xf
	s_waitcnt lgkmcnt(12)
	v_mov_b32_dpp v62, v86 quad_perm:[0,1,2,3] row_mask:0x5 bank_mask:0xf
	s_waitcnt vmcnt(2)
	ds_swizzle_b32 v80, v79 offset:50688
	ds_swizzle_b32 v86, v58 offset:50688
	s_waitcnt lgkmcnt(13)
	v_mov_b32_dpp v109, v74 quad_perm:[0,1,2,3] row_mask:0x5 bank_mask:0xf
	ds_swizzle_b32 v74, v78 offset:50688
	ds_swizzle_b32 v1, v81 offset:50688
	s_waitcnt lgkmcnt(14)
	v_mov_b32_dpp v129, v89 quad_perm:[0,1,2,3] row_mask:0x5 bank_mask:0xf
	ds_swizzle_b32 v89, v9 offset:50688
	s_waitcnt lgkmcnt(11)
	v_mov_b32_dpp v11, v91 quad_perm:[0,1,2,3] row_mask:0x5 bank_mask:0xf
	v_mov_b32_dpp v60, v84 quad_perm:[0,1,2,3] row_mask:0x5 bank_mask:0xf
	s_waitcnt lgkmcnt(10)
	v_mov_b32_dpp v87, v72 quad_perm:[0,1,2,3] row_mask:0x5 bank_mask:0xf
	ds_swizzle_b32 v72, v76 offset:50688
	ds_swizzle_b32 v84, v56 offset:50688
	;; [unrolled: 1-line block ×3, first 2 shown]
	s_waitcnt lgkmcnt(12)
	v_mov_b32_dpp v76, v0 quad_perm:[0,1,2,3] row_mask:0x5 bank_mask:0xf
	s_waitcnt lgkmcnt(11)
	v_mov_b32_dpp v78, v2 quad_perm:[0,1,2,3] row_mask:0x5 bank_mask:0xf
	;; [unrolled: 2-line block ×3, first 2 shown]
	ds_swizzle_b32 v0, v52 offset:50688
	ds_swizzle_b32 v2, v54 offset:50688
	ds_swizzle_b32 v108, v61 offset:50688
	s_waitcnt lgkmcnt(12)
	v_mov_b32_dpp v107, v83 quad_perm:[0,1,2,3] row_mask:0x5 bank_mask:0xf
	s_waitcnt lgkmcnt(11)
	v_mov_b32_dpp v61, v85 quad_perm:[0,1,2,3] row_mask:0x5 bank_mask:0xf
	v_mov_b32_dpp v63, v111 quad_perm:[0,1,2,3] row_mask:0x5 bank_mask:0xf
	ds_swizzle_b32 v83, v66 offset:50688
	ds_swizzle_b32 v85, v57 offset:50688
	;; [unrolled: 1-line block ×3, first 2 shown]
	s_waitcnt lgkmcnt(13)
	v_mov_b32_dpp v80, v47 quad_perm:[0,1,2,3] row_mask:0x5 bank_mask:0xf
	v_fma_f32 v47, s1, v79, v3
	s_waitcnt lgkmcnt(12)
	v_mov_b32_dpp v86, v66 quad_perm:[0,1,2,3] row_mask:0x5 bank_mask:0xf
	s_waitcnt vmcnt(1)
	ds_swizzle_b32 v66, v70 offset:50688
	ds_swizzle_b32 v79, v24 offset:50688
	v_mov_b32_dpp v90, v82 quad_perm:[0,1,2,3] row_mask:0x5 bank_mask:0xf
	ds_swizzle_b32 v82, v65 offset:50688
	s_waitcnt lgkmcnt(14)
	v_mov_b32_dpp v74, v46 quad_perm:[0,1,2,3] row_mask:0x5 bank_mask:0xf
	v_fma_f32 v46, s1, v78, v3
	ds_swizzle_b32 v78, v14 offset:50688
	s_waitcnt lgkmcnt(14)
	v_mov_b32_dpp v9, v1 quad_perm:[0,1,2,3] row_mask:0x5 bank_mask:0xf
	ds_swizzle_b32 v1, v45 offset:50688
	s_waitcnt lgkmcnt(14)
	v_mov_b32_dpp v89, v81 quad_perm:[0,1,2,3] row_mask:0x5 bank_mask:0xf
	;; [unrolled: 3-line block ×3, first 2 shown]
	s_waitcnt lgkmcnt(12)
	v_mov_b32_dpp v91, v67 quad_perm:[0,1,2,3] row_mask:0x5 bank_mask:0xf
	ds_swizzle_b32 v64, v68 offset:50688
	ds_swizzle_b32 v67, v55 offset:50688
	s_waitcnt lgkmcnt(13)
	v_mov_b32_dpp v68, v0 quad_perm:[0,1,2,3] row_mask:0x5 bank_mask:0xf
	s_waitcnt lgkmcnt(12)
	v_mov_b32_dpp v70, v2 quad_perm:[0,1,2,3] row_mask:0x5 bank_mask:0xf
	ds_swizzle_b32 v0, v20 offset:50688
	v_mov_b32_dpp v72, v44 quad_perm:[0,1,2,3] row_mask:0x5 bank_mask:0xf
	v_fma_f32 v44, s1, v76, v3
	s_waitcnt lgkmcnt(10)
	v_mov_b32_dpp v85, v65 quad_perm:[0,1,2,3] row_mask:0x5 bank_mask:0xf
	s_waitcnt lgkmcnt(9)
	v_mov_b32_dpp v59, v111 quad_perm:[0,1,2,3] row_mask:0x5 bank_mask:0xf
	ds_swizzle_b32 v65, v69 offset:50688
	ds_swizzle_b32 v76, v12 offset:50688
	;; [unrolled: 1-line block ×3, first 2 shown]
	s_waitcnt lgkmcnt(11)
	v_mov_b32_dpp v66, v54 quad_perm:[0,1,2,3] row_mask:0x5 bank_mask:0xf
	v_fma_f32 v54, s1, v70, v3
	s_waitcnt lgkmcnt(10)
	v_mov_b32_dpp v79, v12 quad_perm:[0,1,2,3] row_mask:0x5 bank_mask:0xf
	ds_swizzle_b32 v12, v23 offset:50688
	ds_swizzle_b32 v70, v31 offset:50688
	v_mov_b32_dpp v108, v73 quad_perm:[0,1,2,3] row_mask:0x5 bank_mask:0xf
	ds_swizzle_b32 v73, v77 offset:50688
	s_waitcnt lgkmcnt(12)
	v_mov_b32_dpp v57, v82 quad_perm:[0,1,2,3] row_mask:0x5 bank_mask:0xf
	ds_swizzle_b32 v82, v26 offset:50688
	s_waitcnt lgkmcnt(12)
	v_mov_b32_dpp v26, v78 quad_perm:[0,1,2,3] row_mask:0x5 bank_mask:0xf
	s_waitcnt vmcnt(0)
	ds_swizzle_b32 v78, v19 offset:50688
	s_waitcnt lgkmcnt(12)
	v_mov_b32_dpp v77, v1 quad_perm:[0,1,2,3] row_mask:0x5 bank_mask:0xf
	ds_swizzle_b32 v1, v53 offset:50688
	ds_swizzle_b32 v75, v71 offset:50688
	s_waitcnt lgkmcnt(11)
	v_mov_b32_dpp v71, v67 quad_perm:[0,1,2,3] row_mask:0x5 bank_mask:0xf
	ds_swizzle_b32 v67, v28 offset:50688
	s_waitcnt lgkmcnt(11)
	v_mov_b32_dpp v28, v0 quad_perm:[0,1,2,3] row_mask:0x5 bank_mask:0xf
	v_mov_b32_dpp v58, v83 quad_perm:[0,1,2,3] row_mask:0x5 bank_mask:0xf
	ds_swizzle_b32 v83, v27 offset:50688
	v_mov_b32_dpp v64, v52 quad_perm:[0,1,2,3] row_mask:0x5 bank_mask:0xf
	s_waitcnt lgkmcnt(11)
	v_mov_b32_dpp v65, v53 quad_perm:[0,1,2,3] row_mask:0x5 bank_mask:0xf
	s_waitcnt lgkmcnt(10)
	;; [unrolled: 2-line block ×3, first 2 shown]
	v_mov_b32_dpp v27, v111 quad_perm:[0,1,2,3] row_mask:0x5 bank_mask:0xf
	ds_swizzle_b32 v76, v17 offset:50688
	ds_swizzle_b32 v111, v36 offset:50688
	s_waitcnt lgkmcnt(10)
	v_mov_b32_dpp v31, v12 quad_perm:[0,1,2,3] row_mask:0x5 bank_mask:0xf
	s_waitcnt lgkmcnt(9)
	v_mov_b32_dpp v70, v23 quad_perm:[0,1,2,3] row_mask:0x5 bank_mask:0xf
	v_fma_f32 v12, s1, v28, v3
	v_fma_f32 v23, s1, v128, v3
	;; [unrolled: 1-line block ×3, first 2 shown]
	s_waitcnt lgkmcnt(8)
	v_mov_b32_dpp v73, v45 quad_perm:[0,1,2,3] row_mask:0x5 bank_mask:0xf
	v_fma_f32 v45, s1, v77, v3
	ds_swizzle_b32 v77, v13 offset:50688
	ds_swizzle_b32 v2, v22 offset:50688
	;; [unrolled: 1-line block ×3, first 2 shown]
	s_waitcnt lgkmcnt(9)
	v_mov_b32_dpp v78, v39 quad_perm:[0,1,2,3] row_mask:0x5 bank_mask:0xf
	v_fma_f32 v39, s1, v107, v3
	v_fma_f32 v88, s1, v108, v3
	;; [unrolled: 1-line block ×4, first 2 shown]
	ds_swizzle_b32 v64, v23 offset:50688
	ds_swizzle_b32 v65, v28 offset:50688
	s_waitcnt lgkmcnt(10)
	v_mov_b32_dpp v69, v1 quad_perm:[0,1,2,3] row_mask:0x5 bank_mask:0xf
	ds_swizzle_b32 v1, v21 offset:50688
	v_mov_b32_dpp v56, v81 quad_perm:[0,1,2,3] row_mask:0x5 bank_mask:0xf
	ds_swizzle_b32 v81, v25 offset:50688
	v_fma_f32 v8, s1, v8, v3
	s_waitcnt lgkmcnt(11)
	v_mov_b32_dpp v75, v55 quad_perm:[0,1,2,3] row_mask:0x5 bank_mask:0xf
	v_fma_f32 v55, s1, v71, v3
	ds_swizzle_b32 v71, v16 offset:50688
	ds_swizzle_b32 v112, v37 offset:50688
	;; [unrolled: 1-line block ×3, first 2 shown]
	s_waitcnt lgkmcnt(11)
	v_mov_b32_dpp v76, v37 quad_perm:[0,1,2,3] row_mask:0x5 bank_mask:0xf
	s_waitcnt lgkmcnt(10)
	v_mov_b32_dpp v16, v111 quad_perm:[0,1,2,3] row_mask:0x5 bank_mask:0xf
	v_fma_f32 v37, s1, v90, v3
	v_fma_f32 v52, s1, v68, v3
	;; [unrolled: 1-line block ×3, first 2 shown]
	s_waitcnt lgkmcnt(9)
	v_mov_b32_dpp v25, v77 quad_perm:[0,1,2,3] row_mask:0x5 bank_mask:0xf
	ds_swizzle_b32 v68, v29 offset:50688
	ds_swizzle_b32 v69, v30 offset:50688
	ds_swizzle_b32 v77, v18 offset:50688
	s_waitcnt lgkmcnt(11)
	v_mov_b32_dpp v30, v2 quad_perm:[0,1,2,3] row_mask:0x5 bank_mask:0xf
	v_mov_b32_dpp v67, v20 quad_perm:[0,1,2,3] row_mask:0x5 bank_mask:0xf
	v_fma_f32 v0, s1, v16, v3
	ds_swizzle_b32 v20, v40 offset:50688
	ds_swizzle_b32 v16, v8 offset:50688
	s_waitcnt lgkmcnt(11)
	v_mov_b32_dpp v40, v64 quad_perm:[0,1,2,3] row_mask:0x5 bank_mask:0xf
	s_waitcnt lgkmcnt(10)
	v_mov_b32_dpp v8, v65 quad_perm:[0,1,2,3] row_mask:0x5 bank_mask:0xf
	ds_swizzle_b32 v64, v37 offset:50688
	ds_swizzle_b32 v65, v100 offset:50688
	v_mov_b32_dpp v82, v14 quad_perm:[0,1,2,3] row_mask:0x5 bank_mask:0xf
	s_waitcnt lgkmcnt(11)
	v_mov_b32_dpp v29, v1 quad_perm:[0,1,2,3] row_mask:0x5 bank_mask:0xf
	v_fma_f32 v14, s1, v30, v3
	v_fma_f32 v30, s1, v89, v3
	;; [unrolled: 1-line block ×4, first 2 shown]
	ds_swizzle_b32 v66, v105 offset:50688
	s_waitcnt lgkmcnt(11)
	v_mov_b32_dpp v81, v13 quad_perm:[0,1,2,3] row_mask:0x5 bank_mask:0xf
	v_fma_f32 v13, s1, v29, v3
	v_fma_f32 v29, s1, v129, v3
	;; [unrolled: 1-line block ×3, first 2 shown]
	s_waitcnt lgkmcnt(8)
	v_mov_b32_dpp v18, v113 quad_perm:[0,1,2,3] row_mask:0x5 bank_mask:0xf
	v_fma_f32 v73, s1, v73, v3
	v_fma_f32 v90, s1, v110, v3
	;; [unrolled: 1-line block ×3, first 2 shown]
	ds_swizzle_b32 v67, v29 offset:50688
	s_waitcnt lgkmcnt(8)
	v_mov_b32_dpp v68, v21 quad_perm:[0,1,2,3] row_mask:0x5 bank_mask:0xf
	s_waitcnt lgkmcnt(6)
	v_mov_b32_dpp v77, v38 quad_perm:[0,1,2,3] row_mask:0x5 bank_mask:0xf
	v_fma_f32 v38, s1, v131, v3
	v_fma_f32 v2, s1, v18, v3
	ds_swizzle_b32 v21, v41 offset:50688
	s_waitcnt lgkmcnt(6)
	v_mov_b32_dpp v20, v23 quad_perm:[0,1,2,3] row_mask:0x5 bank_mask:0xf
	ds_swizzle_b32 v18, v10 offset:50688
	ds_swizzle_b32 v23, v43 offset:50688
	s_waitcnt lgkmcnt(6)
	v_mov_b32_dpp v10, v64 quad_perm:[0,1,2,3] row_mask:0x5 bank_mask:0xf
	s_waitcnt lgkmcnt(5)
	v_mov_b32_dpp v7, v65 quad_perm:[0,1,2,3] row_mask:0x5 bank_mask:0xf
	ds_swizzle_b32 v64, v88 offset:50688
	ds_swizzle_b32 v65, v73 offset:50688
	v_fma_f32 v9, s1, v9, v3
	v_mov_b32_dpp v17, v112 quad_perm:[0,1,2,3] row_mask:0x5 bank_mask:0xf
	s_waitcnt lgkmcnt(6)
	v_mov_b32_dpp v5, v66 quad_perm:[0,1,2,3] row_mask:0x5 bank_mask:0xf
	ds_swizzle_b32 v66, v38 offset:50688
	v_fma_f32 v87, s1, v87, v3
	v_fma_f32 v61, s1, v61, v3
	;; [unrolled: 1-line block ×3, first 2 shown]
	ds_swizzle_b32 v17, v9 offset:50688
	v_fma_f32 v56, s1, v56, v3
	v_fma_f32 v57, s1, v57, v3
	v_mov_b32_dpp v69, v22 quad_perm:[0,1,2,3] row_mask:0x5 bank_mask:0xf
	v_mov_b32_dpp v71, v36 quad_perm:[0,1,2,3] row_mask:0x5 bank_mask:0xf
	ds_swizzle_b32 v36, v125 offset:50688
	ds_swizzle_b32 v22, v42 offset:50688
	s_waitcnt lgkmcnt(9)
	v_mov_b32_dpp v41, v67 quad_perm:[0,1,2,3] row_mask:0x5 bank_mask:0xf
	ds_swizzle_b32 v67, v87 offset:50688
	v_fma_f32 v113, s1, v68, v3
	v_fma_f32 v116, s1, v69, v3
	ds_swizzle_b32 v68, v30 offset:50688
	ds_swizzle_b32 v69, v103 offset:50688
	s_waitcnt lgkmcnt(11)
	v_mov_b32_dpp v21, v29 quad_perm:[0,1,2,3] row_mask:0x5 bank_mask:0xf
	s_waitcnt lgkmcnt(10)
	v_mov_b32_dpp v18, v37 quad_perm:[0,1,2,3] row_mask:0x5 bank_mask:0xf
	ds_swizzle_b32 v29, v61 offset:50688
	s_waitcnt lgkmcnt(10)
	v_mov_b32_dpp v23, v38 quad_perm:[0,1,2,3] row_mask:0x5 bank_mask:0xf
	ds_swizzle_b32 v37, v45 offset:50688
	ds_swizzle_b32 v38, v46 offset:50688
	s_waitcnt lgkmcnt(11)
	v_mov_b32_dpp v61, v64 quad_perm:[0,1,2,3] row_mask:0x5 bank_mask:0xf
	ds_swizzle_b32 v64, v56 offset:50688
	s_waitcnt lgkmcnt(11)
	v_mov_b32_dpp v45, v65 quad_perm:[0,1,2,3] row_mask:0x5 bank_mask:0xf
	;; [unrolled: 3-line block ×3, first 2 shown]
	ds_swizzle_b32 v66, v102 offset:50688
	v_fma_f32 v60, s1, v60, v3
	v_mov_b32_dpp v83, v15 quad_perm:[0,1,2,3] row_mask:0x5 bank_mask:0xf
	v_fma_f32 v15, s1, v31, v3
	v_fma_f32 v31, s1, v130, v3
	;; [unrolled: 1-line block ×3, first 2 shown]
	s_waitcnt lgkmcnt(11)
	v_mov_b32_dpp v17, v30 quad_perm:[0,1,2,3] row_mask:0x5 bank_mask:0xf
	ds_swizzle_b32 v30, v39 offset:50688
	v_fma_f32 v11, s1, v11, v3
	v_mov_b32_dpp v19, v114 quad_perm:[0,1,2,3] row_mask:0x5 bank_mask:0xf
	v_fma_f32 v72, s1, v72, v3
	v_fma_f32 v84, s1, v84, v3
	;; [unrolled: 1-line block ×5, first 2 shown]
	ds_swizzle_b32 v70, v31 offset:50688
	s_waitcnt lgkmcnt(12)
	v_mov_b32_dpp v4, v36 quad_perm:[0,1,2,3] row_mask:0x5 bank_mask:0xf
	v_mov_b32_dpp v16, v28 quad_perm:[0,1,2,3] row_mask:0x5 bank_mask:0xf
	s_waitcnt lgkmcnt(11)
	v_mov_b32_dpp v22, v31 quad_perm:[0,1,2,3] row_mask:0x5 bank_mask:0xf
	ds_swizzle_b32 v31, v106 offset:50688
	ds_swizzle_b32 v28, v60 offset:50688
	ds_swizzle_b32 v36, v44 offset:50688
	s_waitcnt lgkmcnt(13)
	v_mov_b32_dpp v60, v67 quad_perm:[0,1,2,3] row_mask:0x5 bank_mask:0xf
	ds_swizzle_b32 v67, v74 offset:50688
	v_fma_f32 v62, s1, v62, v3
	v_fma_f32 v63, s1, v63, v3
	v_fma_f32 v58, s1, v58, v3
	v_fma_f32 v59, s1, v59, v3
	v_fma_f32 v24, s1, v24, v3
	v_fma_f32 v25, s1, v25, v3
	v_fma_f32 v26, s1, v26, v3
	v_fma_f32 v27, s1, v27, v3
	v_fma_f32 v80, s1, v80, v3
	v_fma_f32 v86, s1, v86, v3
	v_fma_f32 v91, s1, v91, v3
	v_fma_f32 v79, s1, v79, v3
	v_fma_f32 v111, s1, v71, v3
	v_fma_f32 v112, s1, v81, v3
	v_fma_f32 v114, s1, v76, v3
	v_fma_f32 v115, s1, v82, v3
	v_fma_f32 v117, s1, v77, v3
	v_fma_f32 v118, s1, v83, v3
	v_fma_f32 v119, s1, v78, v3
	v_fmac_f32_e32 v3, s1, v19
	ds_swizzle_b32 v19, v11 offset:50688
	s_waitcnt lgkmcnt(14)
	v_mov_b32_dpp v9, v68 quad_perm:[0,1,2,3] row_mask:0x5 bank_mask:0xf
	s_waitcnt lgkmcnt(13)
	v_mov_b32_dpp v6, v69 quad_perm:[0,1,2,3] row_mask:0x5 bank_mask:0xf
	ds_swizzle_b32 v68, v72 offset:50688
	ds_swizzle_b32 v69, v104 offset:50688
	;; [unrolled: 1-line block ×3, first 2 shown]
	s_waitcnt lgkmcnt(14)
	v_mov_b32_dpp v37, v73 quad_perm:[0,1,2,3] row_mask:0x5 bank_mask:0xf
	ds_swizzle_b32 v73, v101 offset:50688
	ds_swizzle_b32 v76, v84 offset:50688
	;; [unrolled: 1-line block ×3, first 2 shown]
	s_waitcnt lgkmcnt(16)
	v_mov_b32_dpp v38, v74 quad_perm:[0,1,2,3] row_mask:0x5 bank_mask:0xf
	ds_swizzle_b32 v74, v85 offset:50688
	s_waitcnt lgkmcnt(16)
	v_mov_b32_dpp v64, v84 quad_perm:[0,1,2,3] row_mask:0x5 bank_mask:0xf
	ds_swizzle_b32 v84, v75 offset:50688
	;; [unrolled: 3-line block ×5, first 2 shown]
	ds_swizzle_b32 v78, v95 offset:50688
	s_waitcnt lgkmcnt(16)
	v_mov_b32_dpp v32, v31 quad_perm:[0,1,2,3] row_mask:0x5 bank_mask:0xf
	s_waitcnt lgkmcnt(14)
	v_mov_b32_dpp v36, v72 quad_perm:[0,1,2,3] row_mask:0x5 bank_mask:0xf
	ds_swizzle_b32 v31, v63 offset:50688
	ds_swizzle_b32 v72, v80 offset:50688
	s_waitcnt lgkmcnt(15)
	v_mov_b32_dpp v46, v67 quad_perm:[0,1,2,3] row_mask:0x5 bank_mask:0xf
	ds_swizzle_b32 v67, v59 offset:50688
	s_waitcnt lgkmcnt(15)
	v_mov_b32_dpp v19, v39 quad_perm:[0,1,2,3] row_mask:0x5 bank_mask:0xf
	s_waitcnt lgkmcnt(14)
	v_mov_b32_dpp v44, v68 quad_perm:[0,1,2,3] row_mask:0x5 bank_mask:0xf
	s_waitcnt lgkmcnt(13)
	v_mov_b32_dpp v33, v69 quad_perm:[0,1,2,3] row_mask:0x5 bank_mask:0xf
	ds_swizzle_b32 v69, v94 offset:50688
	ds_swizzle_b32 v39, v47 offset:50688
	ds_swizzle_b32 v68, v52 offset:50688
	s_waitcnt lgkmcnt(15)
	v_mov_b32_dpp v63, v71 quad_perm:[0,1,2,3] row_mask:0x5 bank_mask:0xf
	s_waitcnt lgkmcnt(14)
	v_mov_b32_dpp v48, v73 quad_perm:[0,1,2,3] row_mask:0x5 bank_mask:0xf
	;; [unrolled: 2-line block ×3, first 2 shown]
	ds_swizzle_b32 v73, v108 offset:50688
	s_waitcnt lgkmcnt(13)
	v_mov_b32_dpp v52, v77 quad_perm:[0,1,2,3] row_mask:0x5 bank_mask:0xf
	ds_swizzle_b32 v71, v55 offset:50688
	ds_swizzle_b32 v77, v92 offset:50688
	;; [unrolled: 1-line block ×4, first 2 shown]
	s_waitcnt lgkmcnt(15)
	v_mov_b32_dpp v55, v84 quad_perm:[0,1,2,3] row_mask:0x5 bank_mask:0xf
	s_waitcnt lgkmcnt(14)
	v_mov_b32_dpp v12, v85 quad_perm:[0,1,2,3] row_mask:0x5 bank_mask:0xf
	ds_swizzle_b32 v84, v112 offset:50688
	ds_swizzle_b32 v85, v113 offset:50688
	v_mov_b32_dpp v28, v87 quad_perm:[0,1,2,3] row_mask:0x5 bank_mask:0xf
	ds_swizzle_b32 v81, v86 offset:50688
	s_waitcnt lgkmcnt(16)
	v_mov_b32_dpp v66, v86 quad_perm:[0,1,2,3] row_mask:0x5 bank_mask:0xf
	ds_swizzle_b32 v86, v114 offset:50688
	ds_swizzle_b32 v87, v115 offset:50688
	v_mov_b32_dpp v42, v70 quad_perm:[0,1,2,3] row_mask:0x5 bank_mask:0xf
	ds_swizzle_b32 v70, v89 offset:50688
	v_mov_b32_dpp v29, v88 quad_perm:[0,1,2,3] row_mask:0x5 bank_mask:0xf
	s_waitcnt lgkmcnt(18)
	v_mov_b32_dpp v30, v89 quad_perm:[0,1,2,3] row_mask:0x5 bank_mask:0xf
	ds_swizzle_b32 v82, v109 offset:50688
	s_waitcnt lgkmcnt(18)
	v_mov_b32_dpp v49, v78 quad_perm:[0,1,2,3] row_mask:0x5 bank_mask:0xf
	ds_swizzle_b32 v78, v79 offset:50688
	ds_swizzle_b32 v88, v116 offset:50688
	;; [unrolled: 1-line block ×3, first 2 shown]
	s_waitcnt lgkmcnt(20)
	v_mov_b32_dpp v31, v90 quad_perm:[0,1,2,3] row_mask:0x5 bank_mask:0xf
	s_waitcnt lgkmcnt(19)
	v_mov_b32_dpp v47, v72 quad_perm:[0,1,2,3] row_mask:0x5 bank_mask:0xf
	ds_swizzle_b32 v72, v24 offset:50688
	s_waitcnt lgkmcnt(19)
	v_mov_b32_dpp v67, v91 quad_perm:[0,1,2,3] row_mask:0x5 bank_mask:0xf
	ds_swizzle_b32 v90, v118 offset:50688
	ds_swizzle_b32 v91, v105 offset:50688
	v_add_nc_u32_e32 v96, s15, v96
	s_waitcnt lgkmcnt(20)
	v_mov_b32_dpp v35, v69 quad_perm:[0,1,2,3] row_mask:0x5 bank_mask:0xf
	s_waitcnt lgkmcnt(19)
	v_mov_b32_dpp v39, v80 quad_perm:[0,1,2,3] row_mask:0x5 bank_mask:0xf
	ds_swizzle_b32 v69, v53 offset:50688
	ds_swizzle_b32 v80, v93 offset:50688
	v_mov_b32_dpp v57, v74 quad_perm:[0,1,2,3] row_mask:0x5 bank_mask:0xf
	s_waitcnt lgkmcnt(19)
	v_mov_b32_dpp v53, v73 quad_perm:[0,1,2,3] row_mask:0x5 bank_mask:0xf
	s_waitcnt lgkmcnt(18)
	;; [unrolled: 2-line block ×4, first 2 shown]
	v_mov_b32_dpp v59, v83 quad_perm:[0,1,2,3] row_mask:0x5 bank_mask:0xf
	ds_swizzle_b32 v83, v111 offset:50688
	ds_swizzle_b32 v73, v25 offset:50688
	;; [unrolled: 1-line block ×6, first 2 shown]
	s_waitcnt lgkmcnt(20)
	v_mov_b32_dpp v25, v84 quad_perm:[0,1,2,3] row_mask:0x5 bank_mask:0xf
	s_waitcnt lgkmcnt(19)
	v_mov_b32_dpp v13, v85 quad_perm:[0,1,2,3] row_mask:0x5 bank_mask:0xf
	v_lshlrev_b64 v[84:85], 2, v[96:97]
	v_add_nc_u32_e32 v96, s15, v96
	s_waitcnt lgkmcnt(18)
	v_mov_b32_dpp v58, v81 quad_perm:[0,1,2,3] row_mask:0x5 bank_mask:0xf
	ds_swizzle_b32 v81, v1 offset:50688
	s_waitcnt lgkmcnt(18)
	v_mov_b32_dpp v1, v86 quad_perm:[0,1,2,3] row_mask:0x5 bank_mask:0xf
	s_waitcnt lgkmcnt(17)
	v_mov_b32_dpp v26, v87 quad_perm:[0,1,2,3] row_mask:0x5 bank_mask:0xf
	v_lshlrev_b64 v[86:87], 2, v[96:97]
	v_add_nc_u32_e32 v96, s15, v96
	s_waitcnt lgkmcnt(16)
	v_mov_b32_dpp v62, v70 quad_perm:[0,1,2,3] row_mask:0x5 bank_mask:0xf
	ds_swizzle_b32 v70, v54 offset:50688
	s_waitcnt lgkmcnt(16)
	v_mov_b32_dpp v54, v82 quad_perm:[0,1,2,3] row_mask:0x5 bank_mask:0xf
	s_waitcnt lgkmcnt(15)
	v_mov_b32_dpp v24, v78 quad_perm:[0,1,2,3] row_mask:0x5 bank_mask:0xf
	ds_swizzle_b32 v78, v14 offset:50688
	ds_swizzle_b32 v82, v2 offset:50688
	s_waitcnt lgkmcnt(16)
	v_mov_b32_dpp v14, v88 quad_perm:[0,1,2,3] row_mask:0x5 bank_mask:0xf
	s_waitcnt lgkmcnt(15)
	v_mov_b32_dpp v2, v89 quad_perm:[0,1,2,3] row_mask:0x5 bank_mask:0xf
	v_lshlrev_b64 v[88:89], 2, v[96:97]
	v_add_nc_u32_e32 v96, s15, v96
	v_add_co_u32 v84, vcc_lo, v98, v84
	v_add_co_ci_u32_e32 v85, vcc_lo, v99, v85, vcc_lo
	s_waitcnt lgkmcnt(14)
	v_mov_b32_dpp v72, v79 quad_perm:[0,1,2,3] row_mask:0x5 bank_mask:0xf
	ds_swizzle_b32 v79, v15 offset:50688
	s_waitcnt lgkmcnt(14)
	v_mov_b32_dpp v27, v90 quad_perm:[0,1,2,3] row_mask:0x5 bank_mask:0xf
	s_waitcnt lgkmcnt(13)
	v_mov_b32_dpp v15, v91 quad_perm:[0,1,2,3] row_mask:0x5 bank_mask:0xf
	v_add_co_u32 v86, vcc_lo, v98, v86
	v_lshlrev_b64 v[90:91], 2, v[96:97]
	v_add_nc_u32_e32 v96, s15, v96
	v_add_co_ci_u32_e32 v87, vcc_lo, v99, v87, vcc_lo
	v_add_co_u32 v88, vcc_lo, v98, v88
	s_waitcnt lgkmcnt(11)
	v_mov_b32_dpp v50, v80 quad_perm:[0,1,2,3] row_mask:0x5 bank_mask:0xf
	ds_swizzle_b32 v80, v0 offset:50688
	s_waitcnt lgkmcnt(11)
	v_mov_b32_dpp v0, v83 quad_perm:[0,1,2,3] row_mask:0x5 bank_mask:0xf
	s_waitcnt lgkmcnt(10)
	v_mov_b32_dpp v73, v112 quad_perm:[0,1,2,3] row_mask:0x5 bank_mask:0xf
	ds_swizzle_b32 v83, v3 offset:50688
	s_waitcnt lgkmcnt(9)
	v_mov_b32_dpp v74, v115 quad_perm:[0,1,2,3] row_mask:0x5 bank_mask:0xf
	s_waitcnt lgkmcnt(8)
	v_mov_b32_dpp v75, v118 quad_perm:[0,1,2,3] row_mask:0x5 bank_mask:0xf
	;; [unrolled: 2-line block ×3, first 2 shown]
	v_add_co_ci_u32_e32 v89, vcc_lo, v99, v89, vcc_lo
	v_lshlrev_b64 v[92:93], 2, v[96:97]
	v_add_nc_u32_e32 v96, s15, v96
	v_add_co_u32 v90, vcc_lo, v98, v90
	v_add_co_ci_u32_e32 v91, vcc_lo, v99, v91, vcc_lo
	s_clause 0x3
	global_store_b128 v[84:85], v[72:75], off
	global_store_b128 v[86:87], v[4:7], off
	;; [unrolled: 1-line block ×4, first 2 shown]
	v_lshlrev_b64 v[4:5], 2, v[96:97]
	v_add_nc_u32_e32 v96, s15, v96
	v_add_co_u32 v6, vcc_lo, v98, v92
	v_add_co_ci_u32_e32 v7, vcc_lo, v99, v93, vcc_lo
	s_delay_alu instid0(VALU_DEP_3) | instskip(SKIP_3) | instid1(VALU_DEP_3)
	v_lshlrev_b64 v[32:33], 2, v[96:97]
	v_add_nc_u32_e32 v96, s15, v96
	v_add_co_u32 v4, vcc_lo, v98, v4
	v_add_co_ci_u32_e32 v5, vcc_lo, v99, v5, vcc_lo
	v_lshlrev_b64 v[34:35], 2, v[96:97]
	v_add_nc_u32_e32 v96, s15, v96
	v_add_co_u32 v32, vcc_lo, v98, v32
	v_add_co_ci_u32_e32 v33, vcc_lo, v99, v33, vcc_lo
	s_delay_alu instid0(VALU_DEP_3)
	v_lshlrev_b64 v[48:49], 2, v[96:97]
	v_add_nc_u32_e32 v96, s15, v96
	v_add_co_u32 v34, vcc_lo, v98, v34
	v_add_co_ci_u32_e32 v35, vcc_lo, v99, v35, vcc_lo
	s_clause 0x3
	global_store_b128 v[6:7], v[24:27], off
	global_store_b128 v[4:5], v[20:23], off
	;; [unrolled: 1-line block ×4, first 2 shown]
	v_lshlrev_b64 v[4:5], 2, v[96:97]
	v_add_nc_u32_e32 v96, s15, v96
	v_add_co_u32 v6, vcc_lo, v98, v48
	v_add_co_ci_u32_e32 v7, vcc_lo, v99, v49, vcc_lo
	s_delay_alu instid0(VALU_DEP_3) | instskip(SKIP_3) | instid1(VALU_DEP_3)
	v_lshlrev_b64 v[20:21], 2, v[96:97]
	v_add_nc_u32_e32 v96, s15, v96
	v_add_co_u32 v4, vcc_lo, v98, v4
	v_add_co_ci_u32_e32 v5, vcc_lo, v99, v5, vcc_lo
	v_lshlrev_b64 v[22:23], 2, v[96:97]
	v_add_nc_u32_e32 v96, s15, v96
	v_add_co_u32 v20, vcc_lo, v98, v20
	v_mov_b32_dpp v76, v110 quad_perm:[0,1,2,3] row_mask:0x5 bank_mask:0xf
	v_mov_b32_dpp v77, v113 quad_perm:[0,1,2,3] row_mask:0x5 bank_mask:0xf
	s_waitcnt lgkmcnt(4)
	v_mov_b32_dpp v78, v116 quad_perm:[0,1,2,3] row_mask:0x5 bank_mask:0xf
	s_waitcnt lgkmcnt(2)
	v_mov_b32_dpp v79, v105 quad_perm:[0,1,2,3] row_mask:0x5 bank_mask:0xf
	v_add_co_ci_u32_e32 v21, vcc_lo, v99, v21, vcc_lo
	v_lshlrev_b64 v[24:25], 2, v[96:97]
	v_add_nc_u32_e32 v96, s15, v96
	v_add_co_u32 v22, vcc_lo, v98, v22
	v_add_co_ci_u32_e32 v23, vcc_lo, v99, v23, vcc_lo
	s_clause 0x3
	global_store_b128 v[6:7], v[76:79], off
	global_store_b128 v[4:5], v[40:43], off
	;; [unrolled: 1-line block ×4, first 2 shown]
	v_lshlrev_b64 v[4:5], 2, v[96:97]
	v_add_nc_u32_e32 v96, s15, v96
	v_add_co_u32 v6, vcc_lo, v98, v24
	v_add_co_ci_u32_e32 v7, vcc_lo, v99, v25, vcc_lo
	s_delay_alu instid0(VALU_DEP_3) | instskip(SKIP_3) | instid1(VALU_DEP_3)
	v_lshlrev_b64 v[20:21], 2, v[96:97]
	v_add_nc_u32_e32 v96, s15, v96
	v_add_co_u32 v4, vcc_lo, v98, v4
	v_add_co_ci_u32_e32 v5, vcc_lo, v99, v5, vcc_lo
	v_lshlrev_b64 v[22:23], 2, v[96:97]
	v_add_nc_u32_e32 v96, s15, v96
	v_add_co_u32 v20, vcc_lo, v98, v20
	v_add_co_ci_u32_e32 v21, vcc_lo, v99, v21, vcc_lo
	s_delay_alu instid0(VALU_DEP_3)
	v_lshlrev_b64 v[24:25], 2, v[96:97]
	v_add_nc_u32_e32 v96, s15, v96
	v_add_co_u32 v22, vcc_lo, v98, v22
	v_mov_b32_dpp v68, v107 quad_perm:[0,1,2,3] row_mask:0x5 bank_mask:0xf
	v_mov_b32_dpp v69, v108 quad_perm:[0,1,2,3] row_mask:0x5 bank_mask:0xf
	;; [unrolled: 1-line block ×3, first 2 shown]
	v_add_co_ci_u32_e32 v23, vcc_lo, v99, v23, vcc_lo
	s_clause 0x3
	global_store_b128 v[6:7], v[12:15], off
	global_store_b128 v[4:5], v[16:19], off
	;; [unrolled: 1-line block ×4, first 2 shown]
	v_lshlrev_b64 v[4:5], 2, v[96:97]
	v_add_nc_u32_e32 v96, s15, v96
	v_add_co_u32 v6, vcc_lo, v98, v24
	v_add_co_ci_u32_e32 v7, vcc_lo, v99, v25, vcc_lo
	s_delay_alu instid0(VALU_DEP_3) | instskip(SKIP_3) | instid1(VALU_DEP_3)
	v_lshlrev_b64 v[12:13], 2, v[96:97]
	v_add_nc_u32_e32 v96, s15, v96
	v_add_co_u32 v4, vcc_lo, v98, v4
	v_add_co_ci_u32_e32 v5, vcc_lo, v99, v5, vcc_lo
	v_lshlrev_b64 v[14:15], 2, v[96:97]
	v_add_nc_u32_e32 v96, s15, v96
	v_add_co_u32 v12, vcc_lo, v98, v12
	v_add_co_ci_u32_e32 v13, vcc_lo, v99, v13, vcc_lo
	s_delay_alu instid0(VALU_DEP_3)
	v_lshlrev_b64 v[16:17], 2, v[96:97]
	v_add_co_u32 v14, vcc_lo, v98, v14
	s_waitcnt lgkmcnt(1)
	v_mov_b32_dpp v80, v111 quad_perm:[0,1,2,3] row_mask:0x5 bank_mask:0xf
	v_mov_b32_dpp v81, v114 quad_perm:[0,1,2,3] row_mask:0x5 bank_mask:0xf
	;; [unrolled: 1-line block ×3, first 2 shown]
	s_waitcnt lgkmcnt(0)
	v_mov_b32_dpp v83, v119 quad_perm:[0,1,2,3] row_mask:0x5 bank_mask:0xf
	v_add_co_ci_u32_e32 v15, vcc_lo, v99, v15, vcc_lo
	v_add_co_u32 v16, vcc_lo, v98, v16
	v_add_co_ci_u32_e32 v17, vcc_lo, v99, v17, vcc_lo
	s_clause 0x4
	global_store_b128 v[6:7], v[80:83], off
	global_store_b128 v[4:5], v[8:11], off
	;; [unrolled: 1-line block ×5, first 2 shown]
.LBB0_5:
	s_nop 0
	s_sendmsg sendmsg(MSG_DEALLOC_VGPRS)
	s_endpgm
	.section	.rodata,"a",@progbits
	.p2align	6, 0x0
	.amdhsa_kernel _Z15sgemm_rocwmma_djjjPKfS0_S0_Pfjjjjff
		.amdhsa_group_segment_fixed_size 0
		.amdhsa_private_segment_fixed_size 0
		.amdhsa_kernarg_size 72
		.amdhsa_user_sgpr_count 14
		.amdhsa_user_sgpr_dispatch_ptr 0
		.amdhsa_user_sgpr_queue_ptr 0
		.amdhsa_user_sgpr_kernarg_segment_ptr 1
		.amdhsa_user_sgpr_dispatch_id 0
		.amdhsa_user_sgpr_private_segment_size 0
		.amdhsa_wavefront_size32 1
		.amdhsa_uses_dynamic_stack 0
		.amdhsa_enable_private_segment 0
		.amdhsa_system_sgpr_workgroup_id_x 1
		.amdhsa_system_sgpr_workgroup_id_y 1
		.amdhsa_system_sgpr_workgroup_id_z 0
		.amdhsa_system_sgpr_workgroup_info 0
		.amdhsa_system_vgpr_workitem_id 1
		.amdhsa_next_free_vgpr 147
		.amdhsa_next_free_sgpr 24
		.amdhsa_reserve_vcc 1
		.amdhsa_float_round_mode_32 0
		.amdhsa_float_round_mode_16_64 0
		.amdhsa_float_denorm_mode_32 3
		.amdhsa_float_denorm_mode_16_64 3
		.amdhsa_dx10_clamp 1
		.amdhsa_ieee_mode 1
		.amdhsa_fp16_overflow 0
		.amdhsa_workgroup_processor_mode 1
		.amdhsa_memory_ordered 1
		.amdhsa_forward_progress 0
		.amdhsa_shared_vgpr_count 0
		.amdhsa_exception_fp_ieee_invalid_op 0
		.amdhsa_exception_fp_denorm_src 0
		.amdhsa_exception_fp_ieee_div_zero 0
		.amdhsa_exception_fp_ieee_overflow 0
		.amdhsa_exception_fp_ieee_underflow 0
		.amdhsa_exception_fp_ieee_inexact 0
		.amdhsa_exception_int_div_zero 0
	.end_amdhsa_kernel
	.text
.Lfunc_end0:
	.size	_Z15sgemm_rocwmma_djjjPKfS0_S0_Pfjjjjff, .Lfunc_end0-_Z15sgemm_rocwmma_djjjPKfS0_S0_Pfjjjjff
                                        ; -- End function
	.section	.AMDGPU.csdata,"",@progbits
; Kernel info:
; codeLenInByte = 9232
; NumSgprs: 26
; NumVgprs: 147
; ScratchSize: 0
; MemoryBound: 1
; FloatMode: 240
; IeeeMode: 1
; LDSByteSize: 0 bytes/workgroup (compile time only)
; SGPRBlocks: 3
; VGPRBlocks: 18
; NumSGPRsForWavesPerEU: 26
; NumVGPRsForWavesPerEU: 147
; Occupancy: 9
; WaveLimiterHint : 0
; COMPUTE_PGM_RSRC2:SCRATCH_EN: 0
; COMPUTE_PGM_RSRC2:USER_SGPR: 14
; COMPUTE_PGM_RSRC2:TRAP_HANDLER: 0
; COMPUTE_PGM_RSRC2:TGID_X_EN: 1
; COMPUTE_PGM_RSRC2:TGID_Y_EN: 1
; COMPUTE_PGM_RSRC2:TGID_Z_EN: 0
; COMPUTE_PGM_RSRC2:TIDIG_COMP_CNT: 1
	.text
	.p2alignl 7, 3214868480
	.fill 96, 4, 3214868480
	.type	__hip_cuid_61e8c2b62aa45ad6,@object ; @__hip_cuid_61e8c2b62aa45ad6
	.section	.bss,"aw",@nobits
	.globl	__hip_cuid_61e8c2b62aa45ad6
__hip_cuid_61e8c2b62aa45ad6:
	.byte	0                               ; 0x0
	.size	__hip_cuid_61e8c2b62aa45ad6, 1

	.ident	"AMD clang version 19.0.0git (https://github.com/RadeonOpenCompute/llvm-project roc-6.4.0 25133 c7fe45cf4b819c5991fe208aaa96edf142730f1d)"
	.section	".note.GNU-stack","",@progbits
	.addrsig
	.addrsig_sym __hip_cuid_61e8c2b62aa45ad6
	.amdgpu_metadata
---
amdhsa.kernels:
  - .args:
      - .offset:         0
        .size:           4
        .value_kind:     by_value
      - .offset:         4
        .size:           4
        .value_kind:     by_value
      - .offset:         8
        .size:           4
        .value_kind:     by_value
      - .address_space:  global
        .offset:         16
        .size:           8
        .value_kind:     global_buffer
      - .address_space:  global
        .offset:         24
        .size:           8
        .value_kind:     global_buffer
      - .address_space:  global
        .offset:         32
        .size:           8
        .value_kind:     global_buffer
      - .address_space:  global
        .offset:         40
        .size:           8
        .value_kind:     global_buffer
      - .offset:         48
        .size:           4
        .value_kind:     by_value
      - .offset:         52
        .size:           4
        .value_kind:     by_value
      - .offset:         56
        .size:           4
        .value_kind:     by_value
      - .offset:         60
        .size:           4
        .value_kind:     by_value
      - .offset:         64
        .size:           4
        .value_kind:     by_value
      - .offset:         68
        .size:           4
        .value_kind:     by_value
    .group_segment_fixed_size: 0
    .kernarg_segment_align: 8
    .kernarg_segment_size: 72
    .language:       OpenCL C
    .language_version:
      - 2
      - 0
    .max_flat_workgroup_size: 256
    .name:           _Z15sgemm_rocwmma_djjjPKfS0_S0_Pfjjjjff
    .private_segment_fixed_size: 0
    .sgpr_count:     26
    .sgpr_spill_count: 0
    .symbol:         _Z15sgemm_rocwmma_djjjPKfS0_S0_Pfjjjjff.kd
    .uniform_work_group_size: 1
    .uses_dynamic_stack: false
    .vgpr_count:     147
    .vgpr_spill_count: 0
    .wavefront_size: 32
    .workgroup_processor_mode: 1
amdhsa.target:   amdgcn-amd-amdhsa--gfx1100
amdhsa.version:
  - 1
  - 2
...

	.end_amdgpu_metadata
